;; amdgpu-corpus repo=llvm/llvm-project kind=harvested arch=n/a opt=n/a
// NOTE: Assertions have been autogenerated by utils/update_mc_test_checks.py UTC_ARGS: --version 5
// RUN: llvm-mc -triple=amdgcn -mcpu=gfx1250 -show-encoding < %s | FileCheck --check-prefix=GFX1250 %s

v_fma_mix_f32_f16 v5, v1, v2, s3
// GFX1250: v_fma_mix_f32 v5, v1, v2, s3            ; encoding: [0x05,0x00,0x20,0xcc,0x01,0x05,0x0e,0x00]
